;; amdgpu-corpus repo=vllm-project/vllm kind=triton arch=gfx950 opt=O3 lang=triton
	.amdgcn_target "amdgcn-amd-amdhsa--gfx950"
	.amdhsa_code_object_version 5
	.text
	.globl	kernel_paged_attention_2d       ; -- Begin function kernel_paged_attention_2d
	.p2align	8
	.type	kernel_paged_attention_2d,@function
kernel_paged_attention_2d:              ; @kernel_paged_attention_2d
.Lfunc_begin0:
	.cfi_sections .debug_frame
	.cfi_startproc
; %bb.27:
	.file	1 "/root/src/amdgpu-assembly/repos/vllm-project__vllm/triton_aot_kernels" "chunked_prefill_paged_decode_aot.py"
	.loc	1 22 0 prologue_end             ; chunked_prefill_paged_decode_aot.py:22:0
	s_load_dwordx2 s[2:3], s[0:1], 0x0
	s_load_dwordx8 s[4:11], s[0:1], 0x8
	s_load_dwordx4 s[12:15], s[0:1], 0x28
	s_waitcnt lgkmcnt(0)
	s_branch .LBB0_0
	.loc	1 0 0 is_stmt 0                 ; :0:0
.Ltmp0:
	.p2align	8
; %bb.28:
.LBB0_0:
	s_load_dwordx2 s[18:19], s[0:1], 0x54
.Ltmp1:
	.loc	1 172 12 is_stmt 1              ; chunked_prefill_paged_decode_aot.py:172:12
	v_readfirstlane_b32 s23, v0
	.loc	1 78 35                         ; chunked_prefill_paged_decode_aot.py:78:35
	s_lshl_b32 s22, s17, 2
	s_mov_b32 s10, s17
	.loc	1 79 11                         ; chunked_prefill_paged_decode_aot.py:79:11
	s_bfe_u32 s11, s23, 0x10007
	.loc	1 83 39                         ; chunked_prefill_paged_decode_aot.py:83:39
	s_waitcnt lgkmcnt(0)
	s_mul_i32 s17, s18, s16
	.loc	1 87 53                         ; chunked_prefill_paged_decode_aot.py:87:53
	s_add_i32 s18, s22, 4
	.loc	1 237 8                         ; chunked_prefill_paged_decode_aot.py:237:8
	s_and_b32 s35, s23, 0xc0
	.loc	1 79 11                         ; chunked_prefill_paged_decode_aot.py:79:11
	v_and_b32_e32 v1, 63, v0
	.loc	1 78 56                         ; chunked_prefill_paged_decode_aot.py:78:56
	s_or_b32 s24, s11, s22
	.loc	1 88 29                         ; chunked_prefill_paged_decode_aot.py:88:29
	s_min_i32 s18, s18, 32
	.loc	1 90 37                         ; chunked_prefill_paged_decode_aot.py:90:37
	v_mov_b32_e32 v2, 0x7f
	.loc	1 88 29                         ; chunked_prefill_paged_decode_aot.py:88:29
	s_cmp_gt_i32 s18, s24
	.loc	1 90 37                         ; chunked_prefill_paged_decode_aot.py:90:37
	v_bitop3_b32 v10, s35, v2, v1 bitop3:0xc8
	.loc	1 88 29                         ; chunked_prefill_paged_decode_aot.py:88:29
	s_cselect_b64 s[20:21], -1, 0
	.loc	1 94 35                         ; chunked_prefill_paged_decode_aot.py:94:35
	v_mov_b32_e32 v3, 0
	.loc	1 94 8 is_stmt 0                ; chunked_prefill_paged_decode_aot.py:94:8
	s_cmp_le_i32 s18, s24
	v_lshlrev_b32_e32 v15, 1, v10
	s_cbranch_scc1 .LBB0_2
; %bb.1:
	.loc	1 84 36 is_stmt 1               ; chunked_prefill_paged_decode_aot.py:84:36
	s_mul_i32 s25, s24, s19
	.loc	1 84 10 is_stmt 0               ; chunked_prefill_paged_decode_aot.py:84:10
	s_add_i32 s26, s25, s17
	.loc	1 94 20 is_stmt 1               ; chunked_prefill_paged_decode_aot.py:94:20
	s_ashr_i32 s27, s26, 31
	s_lshl_b64 s[26:27], s[26:27], 1
	s_add_u32 s26, s4, s26
	s_addc_u32 s27, s5, s27
	.loc	1 94 8 is_stmt 0                ; chunked_prefill_paged_decode_aot.py:94:8
	global_load_ushort v3, v15, s[26:27]
.LBB0_2:
	s_andn2_b64 vcc, exec, s[20:21]
	s_cbranch_vccnz .LBB0_4
; %bb.3:
	.loc	1 78 56 is_stmt 1               ; chunked_prefill_paged_decode_aot.py:78:56
	s_or_b32 s20, s24, 2
	.loc	1 84 36                         ; chunked_prefill_paged_decode_aot.py:84:36
	s_mul_i32 s20, s20, s19
	.loc	1 84 10 is_stmt 0               ; chunked_prefill_paged_decode_aot.py:84:10
	s_add_i32 s20, s20, s17
	.loc	1 94 20 is_stmt 1               ; chunked_prefill_paged_decode_aot.py:94:20
	s_ashr_i32 s21, s20, 31
	s_lshl_b64 s[20:21], s[20:21], 1
	s_add_u32 s20, s4, s20
	s_addc_u32 s21, s5, s21
	.loc	1 94 8 is_stmt 0                ; chunked_prefill_paged_decode_aot.py:94:8
	global_load_ushort v4, v15, s[20:21]
	s_branch .LBB0_5
.LBB0_4:
	.loc	1 0 8                           ; chunked_prefill_paged_decode_aot.py:0:8
	v_mov_b32_e32 v4, 0
.LBB0_5:
	.loc	1 78 56 is_stmt 1               ; chunked_prefill_paged_decode_aot.py:78:56
	s_add_i32 s24, s22, s11
	s_add_i32 s25, s24, 4
	.loc	1 88 29                         ; chunked_prefill_paged_decode_aot.py:88:29
	s_cmp_gt_i32 s18, s25
	s_cselect_b64 s[20:21], -1, 0
	.loc	1 94 8                          ; chunked_prefill_paged_decode_aot.py:94:8
	s_cmp_le_i32 s18, s25
	s_cbranch_scc1 .LBB0_8
; %bb.6:
	.loc	1 84 36                         ; chunked_prefill_paged_decode_aot.py:84:36
	s_mul_i32 s25, s25, s19
	.loc	1 84 10 is_stmt 0               ; chunked_prefill_paged_decode_aot.py:84:10
	s_add_i32 s26, s25, s17
	.loc	1 94 20 is_stmt 1               ; chunked_prefill_paged_decode_aot.py:94:20
	s_ashr_i32 s27, s26, 31
	s_lshl_b64 s[26:27], s[26:27], 1
	s_add_u32 s26, s4, s26
	s_addc_u32 s27, s5, s27
	.loc	1 94 8 is_stmt 0                ; chunked_prefill_paged_decode_aot.py:94:8
	global_load_ushort v5, v15, s[26:27]
	s_andn2_b64 vcc, exec, s[20:21]
	s_cbranch_vccz .LBB0_9
.LBB0_7:
	.loc	1 0 8                           ; chunked_prefill_paged_decode_aot.py:0:8
	v_mov_b32_e32 v6, 0
	.loc	1 94 8                          ; chunked_prefill_paged_decode_aot.py:94:8
	s_branch .LBB0_10
.LBB0_8:
	.loc	1 0 8                           ; chunked_prefill_paged_decode_aot.py:0:8
	v_mov_b32_e32 v5, 0
	.loc	1 94 8                          ; chunked_prefill_paged_decode_aot.py:94:8
	s_andn2_b64 vcc, exec, s[20:21]
	s_cbranch_vccnz .LBB0_7
.LBB0_9:
	.loc	1 78 56 is_stmt 1               ; chunked_prefill_paged_decode_aot.py:78:56
	s_add_i32 s20, s24, 6
	.loc	1 84 36                         ; chunked_prefill_paged_decode_aot.py:84:36
	s_mul_i32 s20, s20, s19
	.loc	1 84 10 is_stmt 0               ; chunked_prefill_paged_decode_aot.py:84:10
	s_add_i32 s20, s20, s17
	.loc	1 94 20 is_stmt 1               ; chunked_prefill_paged_decode_aot.py:94:20
	s_ashr_i32 s21, s20, 31
	s_lshl_b64 s[20:21], s[20:21], 1
	s_add_u32 s20, s4, s20
	s_addc_u32 s21, s5, s21
	.loc	1 94 8 is_stmt 0                ; chunked_prefill_paged_decode_aot.py:94:8
	global_load_ushort v6, v15, s[20:21]
.LBB0_10:
	.loc	1 78 56 is_stmt 1               ; chunked_prefill_paged_decode_aot.py:78:56
	s_add_i32 s25, s24, 8
	.loc	1 88 29                         ; chunked_prefill_paged_decode_aot.py:88:29
	s_cmp_gt_i32 s18, s25
	s_cselect_b64 s[20:21], -1, 0
	.loc	1 94 8                          ; chunked_prefill_paged_decode_aot.py:94:8
	s_cmp_le_i32 s18, s25
	s_cbranch_scc1 .LBB0_13
; %bb.11:
	.loc	1 84 36                         ; chunked_prefill_paged_decode_aot.py:84:36
	s_mul_i32 s25, s25, s19
	.loc	1 84 10 is_stmt 0               ; chunked_prefill_paged_decode_aot.py:84:10
	s_add_i32 s26, s25, s17
	.loc	1 94 20 is_stmt 1               ; chunked_prefill_paged_decode_aot.py:94:20
	s_ashr_i32 s27, s26, 31
	s_lshl_b64 s[26:27], s[26:27], 1
	s_add_u32 s26, s4, s26
	s_addc_u32 s27, s5, s27
	.loc	1 94 8 is_stmt 0                ; chunked_prefill_paged_decode_aot.py:94:8
	global_load_ushort v7, v15, s[26:27]
	s_andn2_b64 vcc, exec, s[20:21]
	s_cbranch_vccz .LBB0_14
.LBB0_12:
	.loc	1 0 8                           ; chunked_prefill_paged_decode_aot.py:0:8
	v_mov_b32_e32 v8, 0
	.loc	1 94 8                          ; chunked_prefill_paged_decode_aot.py:94:8
	s_branch .LBB0_15
.LBB0_13:
	.loc	1 0 8                           ; chunked_prefill_paged_decode_aot.py:0:8
	v_mov_b32_e32 v7, 0
	.loc	1 94 8                          ; chunked_prefill_paged_decode_aot.py:94:8
	s_andn2_b64 vcc, exec, s[20:21]
	s_cbranch_vccnz .LBB0_12
.LBB0_14:
	.loc	1 78 56 is_stmt 1               ; chunked_prefill_paged_decode_aot.py:78:56
	s_add_i32 s20, s24, 10
	.loc	1 84 36                         ; chunked_prefill_paged_decode_aot.py:84:36
	s_mul_i32 s20, s20, s19
	.loc	1 84 10 is_stmt 0               ; chunked_prefill_paged_decode_aot.py:84:10
	s_add_i32 s20, s20, s17
	.loc	1 94 20 is_stmt 1               ; chunked_prefill_paged_decode_aot.py:94:20
	s_ashr_i32 s21, s20, 31
	s_lshl_b64 s[20:21], s[20:21], 1
	s_add_u32 s20, s4, s20
	s_addc_u32 s21, s5, s21
	.loc	1 94 8 is_stmt 0                ; chunked_prefill_paged_decode_aot.py:94:8
	global_load_ushort v8, v15, s[20:21]
.LBB0_15:
	.loc	1 78 56 is_stmt 1               ; chunked_prefill_paged_decode_aot.py:78:56
	s_add_i32 s25, s24, 12
	.loc	1 88 29                         ; chunked_prefill_paged_decode_aot.py:88:29
	s_cmp_gt_i32 s18, s25
	s_cselect_b64 s[20:21], -1, 0
	.loc	1 94 8                          ; chunked_prefill_paged_decode_aot.py:94:8
	s_cmp_le_i32 s18, s25
	s_cbranch_scc1 .LBB0_17
; %bb.16:
	.loc	1 84 36                         ; chunked_prefill_paged_decode_aot.py:84:36
	s_mul_i32 s25, s25, s19
	.loc	1 84 10 is_stmt 0               ; chunked_prefill_paged_decode_aot.py:84:10
	s_add_i32 s26, s25, s17
	.loc	1 94 20 is_stmt 1               ; chunked_prefill_paged_decode_aot.py:94:20
	s_ashr_i32 s27, s26, 31
	s_lshl_b64 s[26:27], s[26:27], 1
	s_add_u32 s26, s4, s26
	s_addc_u32 s27, s5, s27
	.loc	1 94 8 is_stmt 0                ; chunked_prefill_paged_decode_aot.py:94:8
	global_load_ushort v9, v15, s[26:27]
	s_branch .LBB0_18
.LBB0_17:
	.loc	1 0 8                           ; chunked_prefill_paged_decode_aot.py:0:8
	v_mov_b32_e32 v9, 0
.LBB0_18:
	s_and_b32 s23, s23, 0x80
	v_mov_b32_e32 v2, 0
	.loc	1 94 8 is_stmt 1                ; chunked_prefill_paged_decode_aot.py:94:8
	s_andn2_b64 vcc, exec, s[20:21]
	v_mov_b32_e32 v11, 0
	s_cbranch_vccnz .LBB0_20
; %bb.19:
	.loc	1 78 56                         ; chunked_prefill_paged_decode_aot.py:78:56
	s_add_i32 s20, s24, 14
	.loc	1 84 36                         ; chunked_prefill_paged_decode_aot.py:84:36
	s_mul_i32 s19, s20, s19
	.loc	1 84 10 is_stmt 0               ; chunked_prefill_paged_decode_aot.py:84:10
	s_add_i32 s20, s19, s17
	.loc	1 94 20 is_stmt 1               ; chunked_prefill_paged_decode_aot.py:94:20
	s_ashr_i32 s21, s20, 31
	s_lshl_b64 s[20:21], s[20:21], 1
	s_add_u32 s4, s4, s20
	s_addc_u32 s5, s5, s21
	.loc	1 94 8 is_stmt 0                ; chunked_prefill_paged_decode_aot.py:94:8
	global_load_ushort v11, v15, s[4:5]
.LBB0_20:
	.loc	1 79 11 is_stmt 1               ; chunked_prefill_paged_decode_aot.py:79:11
	s_cmp_eq_u32 s23, 0
	s_cselect_b64 s[4:5], -1, 0
	.loc	1 94 8                          ; chunked_prefill_paged_decode_aot.py:94:8
	s_and_b64 s[20:21], s[4:5], exec
	s_cselect_b32 s17, 0, 0x110
	v_xor_b32_e32 v13, s17, v15
	v_add_u32_e32 v12, 0, v13
	s_waitcnt vmcnt(0)
	ds_write_b16 v12, v3
	v_xad_u32 v3, v13, 32, 0
	ds_write_b16 v3, v4 offset:512
	v_xad_u32 v3, v13, 64, 0
	ds_write_b16 v3, v5 offset:1024
	v_xor_b32_e32 v3, 0x60, v13
	v_add_u32_e32 v3, 0, v3
	ds_write_b16 v3, v6 offset:1536
	v_xor_b32_e32 v3, 0x80, v13
	v_add_u32_e32 v3, 0, v3
	;; [unrolled: 3-line block ×3, first 2 shown]
	ds_write_b16 v3, v8 offset:2560
	v_xor_b32_e32 v3, 0xc0, v13
	.loc	1 115 37                        ; chunked_prefill_paged_decode_aot.py:115:37
	s_ashr_i32 s17, s16, 31
	.loc	1 94 8                          ; chunked_prefill_paged_decode_aot.py:94:8
	v_add_u32_e32 v3, 0, v3
	.loc	1 115 37                        ; chunked_prefill_paged_decode_aot.py:115:37
	s_lshl_b64 s[20:21], s[16:17], 2
	.loc	1 94 8                          ; chunked_prefill_paged_decode_aot.py:94:8
	ds_write_b16 v3, v9 offset:3072
	v_xor_b32_e32 v3, 0xe0, v13
	.loc	1 115 37                        ; chunked_prefill_paged_decode_aot.py:115:37
	s_add_u32 s14, s14, s20
	.loc	1 94 8                          ; chunked_prefill_paged_decode_aot.py:94:8
	v_add_u32_e32 v3, 0, v3
	.loc	1 115 37                        ; chunked_prefill_paged_decode_aot.py:115:37
	s_addc_u32 s15, s15, s21
	.loc	1 94 8                          ; chunked_prefill_paged_decode_aot.py:94:8
	ds_write_b16 v3, v11 offset:3584
	s_waitcnt lgkmcnt(0)
	s_barrier
	.loc	1 115 22                        ; chunked_prefill_paged_decode_aot.py:115:22
	global_load_dword v13, v2, s[14:15]
	.loc	1 79 11                         ; chunked_prefill_paged_decode_aot.py:79:11
	v_and_b32_e32 v16, 15, v0
	v_or_b32_e32 v11, s35, v1
	.loc	1 78 56                         ; chunked_prefill_paged_decode_aot.py:78:56
	v_add_u32_e32 v1, s22, v16
	.loc	1 88 29                         ; chunked_prefill_paged_decode_aot.py:88:29
	v_cmp_gt_i32_e32 vcc, s18, v1
	s_mov_b32 s17, 0
	s_movk_i32 s14, 0x110
	s_movk_i32 s19, 0x80
	;; [unrolled: 1-line block ×3, first 2 shown]
	v_mov_b32_e32 v9, 0
	v_mov_b32_e32 v8, 0
	;; [unrolled: 1-line block ×9, first 2 shown]
.Ltmp2:
	.loc	1 17 20                         ; chunked_prefill_paged_decode_aot.py:17:20 @[ chunked_prefill_paged_decode_aot.py:123:34 ]
	s_waitcnt vmcnt(0)
	v_readfirstlane_b32 s18, v13
	s_add_i32 s18, s18, 15
.Ltmp3:
	.loc	1 128 22                        ; chunked_prefill_paged_decode_aot.py:128:22
	s_cmp_lt_i32 s18, 16
	s_cbranch_scc0 .LBB0_23
; %bb.21:                               ; %Flow
	.loc	1 0 22 is_stmt 0                ; chunked_prefill_paged_decode_aot.py:0:22
	s_load_dwordx2 s[4:5], s[0:1], 0x5c
	.loc	1 237 8 is_stmt 1               ; chunked_prefill_paged_decode_aot.py:237:8
	s_and_saveexec_b64 s[0:1], vcc
	s_cbranch_execnz .LBB0_26
.LBB0_22:                               ; %.critedge12
	.loc	1 235 4                         ; chunked_prefill_paged_decode_aot.py:235:4
	s_endpgm
.LBB0_23:                               ; %.lr.ph
	.loc	1 79 11                         ; chunked_prefill_paged_decode_aot.py:79:11
	v_and_b32_e32 v2, 48, v0
	.loc	1 94 8                          ; chunked_prefill_paged_decode_aot.py:94:8
	v_lshlrev_b32_e32 v3, 8, v16
	v_lshlrev_b32_e32 v4, 4, v16
	v_bitop3_b32 v6, v4, v3, v2 bitop3:0xde
	v_bitop3_b32 v5, v4, v0, 48 bitop3:0x78
	v_add_u32_e32 v7, 0, v6
	v_xad_u32 v6, v6, 64, 0
	ds_read_b128 v[38:41], v7
	ds_read_b128 v[42:45], v6
	v_bitop3_b32 v6, v5, s19, v3 bitop3:0x36
	v_bitop3_b32 v3, v5, s15, v3 bitop3:0x36
.Ltmp4:
	.loc	1 17 26                         ; chunked_prefill_paged_decode_aot.py:17:26 @[ chunked_prefill_paged_decode_aot.py:123:34 ]
	s_ashr_i32 s15, s18, 31
	s_load_dword s37, s[0:1], 0x84
	s_load_dwordx8 s[20:27], s[0:1], 0x64
	s_load_dword s33, s[0:1], 0x40
	s_load_dword s28, s[0:1], 0x50
	s_lshr_b32 s15, s15, 28
.Ltmp5:
	.loc	1 94 8                          ; chunked_prefill_paged_decode_aot.py:94:8
	v_add_u32_e32 v6, 0, v6
	v_add_u32_e32 v3, 0, v3
.Ltmp6:
	.loc	1 17 26                         ; chunked_prefill_paged_decode_aot.py:17:26 @[ chunked_prefill_paged_decode_aot.py:123:34 ]
	s_add_i32 s18, s18, s15
.Ltmp7:
	.loc	1 144 34                        ; chunked_prefill_paged_decode_aot.py:144:34
	s_lshr_b32 s15, s35, 7
	.loc	1 94 8                          ; chunked_prefill_paged_decode_aot.py:94:8
	ds_read_b128 v[46:49], v6
	ds_read_b128 v[50:53], v3
.Ltmp8:
	.loc	1 17 26                         ; chunked_prefill_paged_decode_aot.py:17:26 @[ chunked_prefill_paged_decode_aot.py:123:34 ]
	s_ashr_i32 s34, s18, 4
.Ltmp9:
	.loc	1 146 33                        ; chunked_prefill_paged_decode_aot.py:146:33
	v_bfe_u32 v3, v11, 4, 3
	.loc	1 144 34                        ; chunked_prefill_paged_decode_aot.py:144:34
	s_or_b32 s18, s15, 14
	.loc	1 146 38                        ; chunked_prefill_paged_decode_aot.py:146:38
	s_waitcnt lgkmcnt(0)
	v_mul_lo_u32 v3, v3, s24
	.loc	1 144 39                        ; chunked_prefill_paged_decode_aot.py:144:39
	s_mul_i32 s24, s18, s22
	.loc	1 144 34 is_stmt 0              ; chunked_prefill_paged_decode_aot.py:144:34
	s_or_b32 s18, s15, 12
	.loc	1 143 28 is_stmt 1              ; chunked_prefill_paged_decode_aot.py:143:28
	s_mul_i32 s21, s21, s10
	.loc	1 152 28                        ; chunked_prefill_paged_decode_aot.py:152:28
	s_mul_i32 s10, s26, s10
	.loc	1 144 39                        ; chunked_prefill_paged_decode_aot.py:144:39
	s_mul_i32 s26, s18, s22
	.loc	1 144 34 is_stmt 0              ; chunked_prefill_paged_decode_aot.py:144:34
	s_or_b32 s18, s15, 10
	.loc	1 79 11 is_stmt 1               ; chunked_prefill_paged_decode_aot.py:79:11
	v_lshrrev_b32_e32 v14, 2, v2
	.loc	1 153 32                        ; chunked_prefill_paged_decode_aot.py:153:32
	v_mul_lo_u32 v2, v10, s27
	.loc	1 144 39                        ; chunked_prefill_paged_decode_aot.py:144:39
	s_mul_i32 s27, s18, s22
	.loc	1 144 34 is_stmt 0              ; chunked_prefill_paged_decode_aot.py:144:34
	s_or_b32 s18, s15, 8
	.loc	1 144 39                        ; chunked_prefill_paged_decode_aot.py:144:39
	s_mul_i32 s36, s18, s22
	.loc	1 144 34                        ; chunked_prefill_paged_decode_aot.py:144:34
	s_or_b32 s18, s15, 6
	.loc	1 144 39                        ; chunked_prefill_paged_decode_aot.py:144:39
	s_mul_i32 s38, s18, s22
	.loc	1 144 34                        ; chunked_prefill_paged_decode_aot.py:144:34
	;; [unrolled: 4-line block ×3, first 2 shown]
	s_or_b32 s18, s15, 2
	.loc	1 144 39                        ; chunked_prefill_paged_decode_aot.py:144:39
	s_mul_i32 s40, s18, s22
	.loc	1 99 35 is_stmt 1               ; chunked_prefill_paged_decode_aot.py:99:35
	s_mul_i32 s18, s28, s16
	.loc	1 137 49                        ; chunked_prefill_paged_decode_aot.py:137:49
	s_ashr_i32 s19, s18, 31
	s_lshl_b64 s[18:19], s[18:19], 2
	s_add_u32 s28, s12, s18
	s_addc_u32 s12, s13, s19
	s_and_b32 s29, s12, 0xffff
	v_lshlrev_b32_e32 v6, 4, v0
	s_and_b64 s[4:5], s[4:5], exec
	v_add_u32_e32 v10, s10, v2
	v_lshlrev_b32_e32 v2, 3, v16
	v_bfe_i32 v5, v0, 4, 1
	v_and_b32_e32 v6, 0x200, v6
	s_cselect_b32 s4, 0, 0x108
	v_bitop3_b32 v2, v5, v2, s14 bitop3:0x6c
	v_add_u32_e32 v5, 0, v6
	v_xor_b32_e32 v6, s4, v15
	v_and_b32_e32 v15, 60, v0
	v_lshlrev_b32_e32 v0, 3, v0
	v_lshlrev_b32_e32 v17, 6, v15
	v_and_b32_e32 v0, 24, v0
	v_lshlrev_b32_e32 v15, 1, v15
	s_lshr_b32 s4, s35, 1
	v_bitop3_b32 v0, v17, v15, v0 bitop3:0x36
	.loc	1 144 39                        ; chunked_prefill_paged_decode_aot.py:144:39
	s_mul_i32 s15, s15, s22
	v_xor_b32_e32 v36, s4, v0
	v_mul_lo_u32 v21, v16, s23
	s_mul_i32 s22, s11, s37
	s_mul_i32 s4, s37, 6
	v_add3_u32 v19, v3, s26, v21
	s_add_i32 s26, s22, s4
	s_mul_i32 s4, s37, 10
	.loc	1 94 8                          ; chunked_prefill_paged_decode_aot.py:94:8
	v_mov_b32_e32 v4, 0
	v_xor_b32_e32 v7, 16, v6
	v_xor_b32_e32 v8, 32, v6
	;; [unrolled: 1-line block ×7, first 2 shown]
	v_add3_u32 v18, v3, s27, v21
	v_add3_u32 v20, v3, s24, v21
	s_lshl1_add_u32 s23, s37, s22
	s_lshl2_add_u32 s24, s37, s22
	s_lshl3_add_u32 s27, s37, s22
	s_add_i32 s35, s22, s4
	s_mul_i32 s4, s37, 12
	s_mul_i32 s37, s37, 14
	s_mov_b32 s31, 0x27000
	s_mov_b32 s30, 0x7ffffffe
	v_add3_u32 v0, v3, s40, v21
	v_add3_u32 v15, v3, s39, v21
	;; [unrolled: 1-line block ×4, first 2 shown]
	s_add_i32 s36, s22, s4
	s_add_i32 s37, s22, s37
	v_add3_u32 v21, v3, s15, v21
	v_mov_b32_e32 v22, 0
	v_mov_b32_e32 v23, 0xff800000
	v_add_u32_e32 v24, v5, v2
	s_mov_b32 s38, 0xff800000
	v_mov_b32_e32 v25, 0xff800000
	s_mov_b32 s39, 0xc2fc0000
	v_mov_b32_e32 v26, 0x42800000
	v_not_b32_e32 v27, 63
	v_add_u32_e32 v28, 0, v6
	v_add_u32_e32 v29, 0, v7
	;; [unrolled: 1-line block ×9, first 2 shown]
	v_mov_b32_e32 v5, v4
	v_mov_b32_e32 v2, v4
	v_mov_b32_e32 v3, v4
	v_mov_b32_e32 v8, v4
	v_mov_b32_e32 v9, v4
	v_mov_b32_e32 v6, v4
	v_mov_b32_e32 v7, v4
.LBB0_24:                               ; =>This Inner Loop Header: Depth=1
	.loc	1 137 30                        ; chunked_prefill_paged_decode_aot.py:137:30
	s_and_b32 s10, s17, 0x3ffffffc
	.loc	1 134 34                        ; chunked_prefill_paged_decode_aot.py:134:34
	v_add_u32_e32 v37, 1, v14
	.loc	1 137 30                        ; chunked_prefill_paged_decode_aot.py:137:30
	v_mov_b32_e32 v56, s10
	.loc	1 185 41                        ; chunked_prefill_paged_decode_aot.py:185:41
	v_cmp_lt_i32_e64 s[14:15], v37, v13
	.loc	1 137 30                        ; chunked_prefill_paged_decode_aot.py:137:30
	buffer_load_dword v37, v56, s[28:31], 0 offen
	.loc	1 134 34                        ; chunked_prefill_paged_decode_aot.py:134:34
	v_add_u32_e32 v54, 2, v14
	.loc	1 137 30                        ; chunked_prefill_paged_decode_aot.py:137:30
	v_add_u32_e32 v55, 3, v14
	.loc	1 185 41                        ; chunked_prefill_paged_decode_aot.py:185:41
	v_cmp_lt_i32_e64 s[12:13], v54, v13
	v_cmp_lt_i32_e64 s[10:11], v55, v13
	;; [unrolled: 1-line block ×3, first 2 shown]
	.loc	1 189 42                        ; chunked_prefill_paged_decode_aot.py:189:42
	s_and_b64 s[4:5], vcc, s[4:5]
	s_and_b64 s[14:15], vcc, s[14:15]
	;; [unrolled: 1-line block ×4, first 2 shown]
	.loc	1 128 22                        ; chunked_prefill_paged_decode_aot.py:128:22
	s_add_i32 s34, s34, -1
	s_add_i32 s17, s17, 4
	v_add_u32_e32 v14, 16, v14
	s_cmp_lg_u32 s34, 0
	.loc	1 142 35                        ; chunked_prefill_paged_decode_aot.py:142:35
	s_waitcnt vmcnt(0)
	v_mul_lo_u32 v54, v37, s20
	.loc	1 151 35                        ; chunked_prefill_paged_decode_aot.py:151:35
	v_mul_lo_u32 v37, v37, s25
	.loc	1 143 14                        ; chunked_prefill_paged_decode_aot.py:143:14
	v_add_u32_e32 v55, s21, v54
	.loc	1 153 14                        ; chunked_prefill_paged_decode_aot.py:153:14
	v_add_u32_e32 v37, v10, v37
	.loc	1 154 14                        ; chunked_prefill_paged_decode_aot.py:154:14
	v_add_u32_e32 v70, s23, v37
	.loc	1 146 14                        ; chunked_prefill_paged_decode_aot.py:146:14
	v_add_u32_e32 v76, v21, v55
	v_add_u32_e32 v54, v0, v55
	v_add_u32_e32 v56, v15, v55
	;; [unrolled: 1-line block ×7, first 2 shown]
	.loc	1 154 14                        ; chunked_prefill_paged_decode_aot.py:154:14
	v_add_u32_e32 v68, s22, v37
	v_add_u32_e32 v72, s24, v37
	v_add_u32_e32 v74, s26, v37
	v_add_u32_e32 v78, s27, v37
	v_add_u32_e32 v80, s35, v37
	v_add_u32_e32 v82, s36, v37
	v_add_u32_e32 v84, s37, v37
	.loc	1 159 28                        ; chunked_prefill_paged_decode_aot.py:159:28
	v_ashrrev_i32_e32 v77, 31, v76
	.loc	1 172 30                        ; chunked_prefill_paged_decode_aot.py:172:30
	v_ashrrev_i32_e32 v71, 31, v70
	;; [unrolled: 2-line block ×3, first 2 shown]
	v_ashrrev_i32_e32 v57, 31, v56
	v_ashrrev_i32_e32 v59, 31, v58
	;; [unrolled: 1-line block ×6, first 2 shown]
	.loc	1 172 30                        ; chunked_prefill_paged_decode_aot.py:172:30
	v_ashrrev_i32_e32 v73, 31, v72
	v_ashrrev_i32_e32 v75, 31, v74
	;; [unrolled: 1-line block ×7, first 2 shown]
	.loc	1 159 28                        ; chunked_prefill_paged_decode_aot.py:159:28
	v_lshl_add_u64 v[76:77], v[76:77], 1, s[6:7]
	.loc	1 172 30                        ; chunked_prefill_paged_decode_aot.py:172:30
	v_lshl_add_u64 v[70:71], v[70:71], 1, s[8:9]
	;; [unrolled: 2-line block ×3, first 2 shown]
	v_lshl_add_u64 v[56:57], v[56:57], 1, s[6:7]
	v_lshl_add_u64 v[58:59], v[58:59], 1, s[6:7]
	;; [unrolled: 1-line block ×6, first 2 shown]
	.loc	1 172 30                        ; chunked_prefill_paged_decode_aot.py:172:30
	v_lshl_add_u64 v[72:73], v[72:73], 1, s[8:9]
	v_lshl_add_u64 v[74:75], v[74:75], 1, s[8:9]
	;; [unrolled: 1-line block ×7, first 2 shown]
	.loc	1 159 12                        ; chunked_prefill_paged_decode_aot.py:159:12
	global_load_ushort v37, v[76:77], off
	global_load_ushort v86, v[54:55], off
	;; [unrolled: 1-line block ×8, first 2 shown]
	.loc	1 172 12                        ; chunked_prefill_paged_decode_aot.py:172:12
	global_load_ushort v93, v[68:69], off
	global_load_ushort v94, v[70:71], off
	;; [unrolled: 1-line block ×7, first 2 shown]
                                        ; kill: killed $vgpr74_vgpr75
                                        ; kill: killed $vgpr78_vgpr79
                                        ; kill: killed $vgpr54_vgpr55
                                        ; kill: killed $vgpr80_vgpr81
                                        ; kill: killed $vgpr56_vgpr57
                                        ; kill: killed $vgpr76_vgpr77
                                        ; kill: killed $vgpr82_vgpr83
                                        ; kill: killed $vgpr58_vgpr59
                                        ; kill: killed $vgpr60_vgpr61
                                        ; kill: killed $vgpr68_vgpr69
                                        ; kill: killed $vgpr62_vgpr63
                                        ; kill: killed $vgpr64_vgpr65
                                        ; kill: killed $vgpr66_vgpr67
                                        ; kill: killed $vgpr70_vgpr71
                                        ; kill: killed $vgpr72_vgpr73
	global_load_ushort v70, v[84:85], off
	.loc	1 159 12                        ; chunked_prefill_paged_decode_aot.py:159:12
	s_waitcnt lgkmcnt(0)
	s_barrier
	s_waitcnt vmcnt(15)
	ds_write_b16 v12, v37
	s_waitcnt vmcnt(14)
	ds_write_b16 v12, v86 offset:512
	s_waitcnt vmcnt(13)
	ds_write_b16 v12, v87 offset:1024
	;; [unrolled: 2-line block ×7, first 2 shown]
	s_waitcnt lgkmcnt(0)
	s_barrier
	ds_read_b64_tr_b16 v[54:55], v24
	ds_read_b64_tr_b16 v[56:57], v24 offset:128
	ds_read_b64_tr_b16 v[58:59], v24 offset:1024
	;; [unrolled: 1-line block ×7, first 2 shown]
	.loc	1 188 31                        ; chunked_prefill_paged_decode_aot.py:188:31
	s_waitcnt lgkmcnt(6)
	v_mfma_f32_16x16x32_f16 v[54:57], v[54:57], v[38:41], 0
	.loc	1 172 12                        ; chunked_prefill_paged_decode_aot.py:172:12
	s_waitcnt lgkmcnt(0)
	s_barrier
	s_waitcnt vmcnt(7)
	ds_write_b16 v28, v93
	s_waitcnt vmcnt(6)
	ds_write_b16 v29, v94 offset:512
	s_waitcnt vmcnt(5)
	ds_write_b16 v30, v95 offset:1024
	.loc	1 188 31                        ; chunked_prefill_paged_decode_aot.py:188:31
	v_mfma_f32_16x16x32_f16 v[54:57], v[58:61], v[42:45], v[54:57]
	.loc	1 172 12                        ; chunked_prefill_paged_decode_aot.py:172:12
	s_waitcnt vmcnt(4)
	ds_write_b16 v31, v96 offset:1536
	s_waitcnt vmcnt(3)
	ds_write_b16 v32, v97 offset:2048
	;; [unrolled: 2-line block ×5, first 2 shown]
	s_waitcnt lgkmcnt(0)
	.loc	1 188 31                        ; chunked_prefill_paged_decode_aot.py:188:31
	v_mfma_f32_16x16x32_f16 v[54:57], v[62:65], v[46:49], v[54:57]
	.loc	1 172 12                        ; chunked_prefill_paged_decode_aot.py:172:12
	s_barrier
	ds_read_b64_tr_b16 v[70:71], v36
	ds_read_b64_tr_b16 v[72:73], v36 offset:128
	.loc	1 188 31                        ; chunked_prefill_paged_decode_aot.py:188:31
	v_mfma_f32_16x16x32_f16 v[54:57], v[66:69], v[50:53], v[54:57]
	.loc	1 188 21 is_stmt 0              ; chunked_prefill_paged_decode_aot.py:188:21
	s_nop 7
	v_mul_f32_e32 v37, s33, v54
	v_mul_f32_e32 v54, s33, v55
	v_mul_f32_e32 v55, s33, v56
	v_mul_f32_e32 v56, s33, v57
	.loc	1 189 56 is_stmt 1              ; chunked_prefill_paged_decode_aot.py:189:56
	v_cndmask_b32_e64 v37, v25, v37, s[4:5]
	v_cndmask_b32_e64 v54, v25, v54, s[14:15]
	;; [unrolled: 1-line block ×4, first 2 shown]
.Ltmp10:
	.file	2 "/root/.local/lib/python3.13/site-packages/triton/language" "standard.py"
	.loc	2 170 27                        ; standard.py:170:27 @[ standard.py:191:40 @[ chunked_prefill_paged_decode_aot.py:201:35 ] ]
	v_max_f32_e32 v57, v37, v54
	v_max3_f32 v57, v57, v55, v56
.Ltmp11:
	.loc	2 191 40                        ; standard.py:191:40 @[ chunked_prefill_paged_decode_aot.py:201:35 ]
	v_mov_b32_e32 v58, v57
	s_nop 1
	v_permlane32_swap_b32_e32 v57, v58
.Ltmp12:
	.loc	2 170 27                        ; standard.py:170:27 @[ standard.py:191:40 @[ chunked_prefill_paged_decode_aot.py:201:35 ] ]
	v_max_f32_e32 v58, v58, v58
	v_max_f32_e32 v57, v57, v57
	;; [unrolled: 1-line block ×3, first 2 shown]
.Ltmp13:
	.loc	2 191 40                        ; standard.py:191:40 @[ chunked_prefill_paged_decode_aot.py:201:35 ]
	v_mov_b32_e32 v58, v57
	s_nop 1
	v_permlane16_swap_b32_e32 v57, v58
.Ltmp14:
	.loc	1 201 28                        ; chunked_prefill_paged_decode_aot.py:201:28
	v_max3_f32 v57, v23, v57, v58
	.loc	1 204 23                        ; chunked_prefill_paged_decode_aot.py:204:23
	v_sub_f32_e32 v37, v37, v57
	v_sub_f32_e32 v54, v54, v57
	;; [unrolled: 1-line block ×3, first 2 shown]
	.loc	1 204 19 is_stmt 0              ; chunked_prefill_paged_decode_aot.py:204:19
	v_mul_f32_e32 v59, 0x3fb8aa3b, v37
	v_mul_f32_e32 v60, 0x3fb8aa3b, v54
	.loc	1 204 23                        ; chunked_prefill_paged_decode_aot.py:204:23
	v_sub_f32_e32 v56, v56, v57
	.loc	1 204 19                        ; chunked_prefill_paged_decode_aot.py:204:19
	v_mul_f32_e32 v61, 0x3fb8aa3b, v55
	v_cmp_gt_f32_e64 s[4:5], s39, v59
	v_cmp_gt_f32_e64 s[10:11], s39, v60
	.loc	1 211 27 is_stmt 1              ; chunked_prefill_paged_decode_aot.py:211:27
	v_sub_f32_e32 v58, v23, v57
	.loc	1 204 19                        ; chunked_prefill_paged_decode_aot.py:204:19
	v_mul_f32_e32 v62, 0x3fb8aa3b, v56
	v_cndmask_b32_e64 v59, 0, v26, s[4:5]
	v_cndmask_b32_e64 v60, 0, v26, s[10:11]
	v_cmp_gt_f32_e64 s[12:13], s39, v61
	.loc	1 211 23                        ; chunked_prefill_paged_decode_aot.py:211:23
	v_mul_f32_e32 v63, 0x3fb8aa3b, v58
	.loc	1 204 19                        ; chunked_prefill_paged_decode_aot.py:204:19
	v_cmp_gt_f32_e64 s[14:15], s39, v62
	v_cndmask_b32_e64 v61, 0, v26, s[12:13]
	v_fmac_f32_e32 v59, 0x3fb8aa3b, v37
	v_fmac_f32_e32 v60, 0x3fb8aa3b, v54
	v_cndmask_b32_e64 v62, 0, v26, s[14:15]
	.loc	1 211 23                        ; chunked_prefill_paged_decode_aot.py:211:23
	v_cmp_gt_f32_e64 s[18:19], s39, v63
	.loc	1 204 19                        ; chunked_prefill_paged_decode_aot.py:204:19
	v_fmac_f32_e32 v61, 0x3fb8aa3b, v55
	v_exp_f32_e32 v37, v59
	v_exp_f32_e32 v55, v60
	.loc	1 211 23                        ; chunked_prefill_paged_decode_aot.py:211:23
	v_cndmask_b32_e64 v63, 0, v26, s[18:19]
	.loc	1 204 19                        ; chunked_prefill_paged_decode_aot.py:204:19
	v_fmac_f32_e32 v62, 0x3fb8aa3b, v56
	v_exp_f32_e32 v56, v61
	.loc	1 211 23                        ; chunked_prefill_paged_decode_aot.py:211:23
	v_fmac_f32_e32 v63, 0x3fb8aa3b, v58
	.loc	1 204 19                        ; chunked_prefill_paged_decode_aot.py:204:19
	v_exp_f32_e32 v58, v62
	v_cndmask_b32_e64 v64, 0, v27, s[4:5]
	v_cndmask_b32_e64 v65, 0, v27, s[10:11]
	.loc	1 211 23                        ; chunked_prefill_paged_decode_aot.py:211:23
	v_exp_f32_e32 v54, v63
	.loc	1 204 19                        ; chunked_prefill_paged_decode_aot.py:204:19
	v_cndmask_b32_e64 v66, 0, v27, s[12:13]
	v_ldexp_f32 v37, v37, v64
	v_ldexp_f32 v55, v55, v65
	.loc	1 205 37                        ; chunked_prefill_paged_decode_aot.py:205:37
	v_cmp_eq_f32_e64 s[10:11], s38, v57
	.loc	1 204 19                        ; chunked_prefill_paged_decode_aot.py:204:19
	v_cndmask_b32_e64 v67, 0, v27, s[14:15]
	v_ldexp_f32 v56, v56, v66
	.loc	1 205 57                        ; chunked_prefill_paged_decode_aot.py:205:57
	v_cndmask_b32_e64 v37, v37, 0, s[10:11]
	v_cndmask_b32_e64 v55, v55, 0, s[10:11]
	.loc	1 211 23                        ; chunked_prefill_paged_decode_aot.py:211:23
	v_cndmask_b32_e64 v68, 0, v27, s[18:19]
	.loc	1 204 19                        ; chunked_prefill_paged_decode_aot.py:204:19
	v_ldexp_f32 v58, v58, v67
	.loc	1 205 57                        ; chunked_prefill_paged_decode_aot.py:205:57
	v_cndmask_b32_e64 v59, v56, 0, s[10:11]
.Ltmp15:
	.loc	2 263 15                        ; standard.py:263:15 @[ standard.py:293:36 @[ chunked_prefill_paged_decode_aot.py:208:21 ] ]
	v_add_f32_e32 v60, v37, v55
.Ltmp16:
	.loc	1 211 23                        ; chunked_prefill_paged_decode_aot.py:211:23
	v_ldexp_f32 v54, v54, v68
	.loc	1 212 50                        ; chunked_prefill_paged_decode_aot.py:212:50
	v_cmp_neq_f32_e64 s[4:5], s38, v23
	.loc	1 205 57                        ; chunked_prefill_paged_decode_aot.py:205:57
	v_cndmask_b32_e64 v58, v58, 0, s[10:11]
	.loc	1 222 27                        ; chunked_prefill_paged_decode_aot.py:222:27
	v_cvt_pk_f16_f32 v56, v37, v55
.Ltmp17:
	.loc	2 263 15                        ; standard.py:263:15 @[ standard.py:293:36 @[ chunked_prefill_paged_decode_aot.py:208:21 ] ]
	v_add_f32_e32 v37, v59, v60
.Ltmp18:
	.loc	1 212 50                        ; chunked_prefill_paged_decode_aot.py:212:50
	v_cndmask_b32_e64 v54, 0, v54, s[4:5]
.Ltmp19:
	.loc	2 263 15                        ; standard.py:263:15 @[ standard.py:293:36 @[ chunked_prefill_paged_decode_aot.py:208:21 ] ]
	v_add_f32_e32 v37, v58, v37
.Ltmp20:
	.loc	1 222 37                        ; chunked_prefill_paged_decode_aot.py:222:37
	v_pk_mul_f32 v[4:5], v[4:5], v[54:55] op_sel_hi:[1,0]
	v_pk_mul_f32 v[2:3], v[2:3], v[54:55] op_sel_hi:[1,0]
	;; [unrolled: 1-line block ×4, first 2 shown]
.Ltmp21:
	.loc	2 293 36                        ; standard.py:293:36 @[ chunked_prefill_paged_decode_aot.py:208:21 ]
	v_mov_b32_e32 v55, v37
	s_nop 1
	v_permlane32_swap_b32_e32 v37, v55
.Ltmp22:
	.loc	2 263 15                        ; standard.py:263:15 @[ standard.py:293:36 @[ chunked_prefill_paged_decode_aot.py:208:21 ] ]
	v_add_f32_e32 v37, v37, v55
	v_mov_b32_e32 v23, v57
.Ltmp23:
	.loc	1 222 27                        ; chunked_prefill_paged_decode_aot.py:222:27
	v_cvt_pk_f16_f32 v57, v59, v58
.Ltmp24:
	.loc	2 293 36                        ; standard.py:293:36 @[ chunked_prefill_paged_decode_aot.py:208:21 ]
	v_mov_b32_e32 v55, v37
	s_nop 1
	v_permlane16_swap_b32_e32 v37, v55
.Ltmp25:
	.loc	1 222 37                        ; chunked_prefill_paged_decode_aot.py:222:37
	s_waitcnt lgkmcnt(1)
	v_mfma_f32_16x16x16_f16 v[2:5], v[70:71], v[56:57], v[2:5]
.Ltmp26:
	.loc	2 263 15                        ; standard.py:263:15 @[ standard.py:293:36 @[ chunked_prefill_paged_decode_aot.py:208:21 ] ]
	v_add_f32_e32 v37, v37, v55
.Ltmp27:
	.loc	1 218 24                        ; chunked_prefill_paged_decode_aot.py:218:24
	v_fmac_f32_e32 v37, v22, v54
	v_mov_b32_e32 v22, v37
	.loc	1 222 37                        ; chunked_prefill_paged_decode_aot.py:222:37
	s_waitcnt lgkmcnt(0)
	v_mfma_f32_16x16x16_f16 v[6:9], v[72:73], v[56:57], v[6:9]
	.loc	1 128 22                        ; chunked_prefill_paged_decode_aot.py:128:22
	s_cbranch_scc1 .LBB0_24
; %bb.25:                               ; %._crit_edge.loopexit
	.loc	1 225 30                        ; chunked_prefill_paged_decode_aot.py:225:30
	v_add_f32_e32 v14, 0x2edbe6ff, v37
	s_load_dwordx2 s[4:5], s[0:1], 0x5c
	.loc	1 237 8                         ; chunked_prefill_paged_decode_aot.py:237:8
	s_and_saveexec_b64 s[0:1], vcc
	s_cbranch_execz .LBB0_22
.LBB0_26:                               ; %.critedge
	.loc	1 225 17                        ; chunked_prefill_paged_decode_aot.py:225:17
	s_nop 2
	v_div_scale_f32 v0, s[0:1], v14, v14, v8
	v_rcp_f32_e32 v10, v0
	.loc	1 90 37                         ; chunked_prefill_paged_decode_aot.py:90:37
	v_lshrrev_b32_e32 v11, 1, v11
	v_and_b32_e32 v12, 0x7e, v11
	.loc	1 225 17                        ; chunked_prefill_paged_decode_aot.py:225:17
	v_fma_f32 v13, -v0, v10, 1.0
	v_fmac_f32_e32 v10, v13, v10
	v_div_scale_f32 v13, vcc, v8, v14, v8
	v_mul_f32_e32 v15, v13, v10
	v_fma_f32 v16, -v0, v15, v13
	v_fmac_f32_e32 v15, v16, v10
	v_fma_f32 v0, -v0, v15, v13
	v_div_scale_f32 v13, s[0:1], v14, v14, v9
	v_rcp_f32_e32 v16, v13
	v_div_fmas_f32 v0, v0, v10, v15
	v_div_fixup_f32 v10, v0, v14, v8
	v_fma_f32 v0, -v13, v16, 1.0
	v_fmac_f32_e32 v16, v0, v16
	v_div_scale_f32 v0, vcc, v9, v14, v9
	v_mul_f32_e32 v8, v0, v16
	v_fma_f32 v15, -v13, v8, v0
	v_fmac_f32_e32 v8, v15, v16
	v_fma_f32 v0, -v13, v8, v0
	v_div_scale_f32 v13, s[0:1], v14, v14, v6
	v_rcp_f32_e32 v15, v13
	v_div_fmas_f32 v0, v0, v16, v8
	v_div_fixup_f32 v16, v0, v14, v9
	v_fma_f32 v0, -v13, v15, 1.0
	v_fmac_f32_e32 v15, v0, v15
	v_div_scale_f32 v0, vcc, v6, v14, v6
	v_mul_f32_e32 v8, v0, v15
	v_fma_f32 v9, -v13, v8, v0
	v_fmac_f32_e32 v8, v9, v15
	v_div_scale_f32 v9, s[0:1], v14, v14, v7
	v_fma_f32 v0, -v13, v8, v0
	v_rcp_f32_e32 v13, v9
	v_div_fmas_f32 v0, v0, v15, v8
	v_div_fixup_f32 v15, v0, v14, v6
	v_fma_f32 v0, -v9, v13, 1.0
	v_fmac_f32_e32 v13, v0, v13
	v_div_scale_f32 v0, vcc, v7, v14, v7
	v_mul_f32_e32 v6, v0, v13
	v_fma_f32 v8, -v9, v6, v0
	v_fmac_f32_e32 v6, v8, v13
	v_div_scale_f32 v8, s[0:1], v14, v14, v4
	v_fma_f32 v0, -v9, v6, v0
	;; [unrolled: 11-line block ×3, first 2 shown]
	v_rcp_f32_e32 v8, v7
	v_div_fmas_f32 v0, v0, v9, v6
	v_div_fixup_f32 v17, v0, v14, v4
	.loc	1 231 39                        ; chunked_prefill_paged_decode_aot.py:231:39
	s_waitcnt lgkmcnt(0)
	s_mul_i32 s0, s4, s16
	.loc	1 225 17                        ; chunked_prefill_paged_decode_aot.py:225:17
	v_fma_f32 v0, -v7, v8, 1.0
	v_fmac_f32_e32 v8, v0, v8
	v_div_scale_f32 v0, vcc, v5, v14, v5
	v_mul_f32_e32 v4, v0, v8
	v_fma_f32 v6, -v7, v4, v0
	v_fmac_f32_e32 v4, v6, v8
	v_fma_f32 v0, -v7, v4, v0
	v_div_fmas_f32 v0, v0, v8, v4
	v_div_fixup_f32 v18, v0, v14, v5
	.loc	1 232 27                        ; chunked_prefill_paged_decode_aot.py:232:27
	v_mul_lo_u32 v0, s5, v1
	.loc	1 232 10 is_stmt 0              ; chunked_prefill_paged_decode_aot.py:232:10
	v_add_u32_e32 v0, s0, v0
	.loc	1 236 21 is_stmt 1              ; chunked_prefill_paged_decode_aot.py:236:21
	v_ashrrev_i32_e32 v1, 31, v0
	v_lshl_add_u64 v[0:1], v[0:1], 1, s[2:3]
	.loc	1 236 46 is_stmt 0              ; chunked_prefill_paged_decode_aot.py:236:46
	v_or_b32_e32 v4, 0x86, v12
	v_mov_b32_e32 v5, 0
	v_lshl_add_u64 v[6:7], v[0:1], 0, v[4:5]
	v_and_b32_e32 v4, 0x78, v11
	.loc	1 225 17 is_stmt 1              ; chunked_prefill_paged_decode_aot.py:225:17
	v_div_scale_f32 v11, s[0:1], v14, v14, v2
	v_rcp_f32_e32 v19, v11
	.loc	1 236 46                        ; chunked_prefill_paged_decode_aot.py:236:46
	v_lshl_add_u64 v[8:9], v[0:1], 0, v[4:5]
	v_or_b32_e32 v4, 6, v12
	v_lshl_add_u64 v[0:1], v[0:1], 0, v[4:5]
	.loc	1 225 17                        ; chunked_prefill_paged_decode_aot.py:225:17
	v_fma_f32 v4, -v11, v19, 1.0
	v_fmac_f32_e32 v19, v4, v19
	v_div_scale_f32 v4, vcc, v2, v14, v2
	v_mul_f32_e32 v5, v4, v19
	v_fma_f32 v12, -v11, v5, v4
	v_fmac_f32_e32 v5, v12, v19
	v_fma_f32 v4, -v11, v5, v4
	v_div_scale_f32 v11, s[0:1], v14, v14, v3
	v_rcp_f32_e32 v12, v11
	v_div_fmas_f32 v4, v4, v19, v5
	v_div_fixup_f32 v2, v4, v14, v2
	v_fma_f32 v4, -v11, v12, 1.0
	v_fmac_f32_e32 v12, v4, v12
	v_div_scale_f32 v4, vcc, v3, v14, v3
	v_mul_f32_e32 v5, v4, v12
	v_fma_f32 v19, -v11, v5, v4
	v_fmac_f32_e32 v5, v19, v12
	v_fma_f32 v4, -v11, v5, v4
	v_div_fmas_f32 v4, v4, v12, v5
	.loc	1 237 8                         ; chunked_prefill_paged_decode_aot.py:237:8
	v_cvt_f16_f32_e32 v5, v17
	.loc	1 225 17                        ; chunked_prefill_paged_decode_aot.py:225:17
	v_div_fixup_f32 v3, v4, v14, v3
	.loc	1 237 8                         ; chunked_prefill_paged_decode_aot.py:237:8
	v_cvt_pk_f16_f32 v2, v2, v3
	v_cvt_f16_f32_e32 v3, v18
	global_store_short v[8:9], v5, off offset:4
	global_store_dword v[8:9], v2, off
	v_cvt_f16_f32_e32 v2, v10
	global_store_short v[0:1], v3, off
	v_cvt_f16_f32_e32 v0, v16
	v_cvt_pk_f16_f32 v1, v15, v13
	global_store_short v[8:9], v2, off offset:132
	global_store_dword v[8:9], v1, off offset:128
	global_store_short v[6:7], v0, off
	.loc	1 235 4                         ; chunked_prefill_paged_decode_aot.py:235:4
	s_endpgm
.Ltmp28:
	.section	.rodata,"a",@progbits
	.p2align	6, 0x0
	.amdhsa_kernel kernel_paged_attention_2d
		.amdhsa_group_segment_fixed_size 0
		.amdhsa_private_segment_fixed_size 0
		.amdhsa_kernarg_size 160
		.amdhsa_user_sgpr_count 16
		.amdhsa_user_sgpr_dispatch_ptr 0
		.amdhsa_user_sgpr_queue_ptr 0
		.amdhsa_user_sgpr_kernarg_segment_ptr 1
		.amdhsa_user_sgpr_dispatch_id 0
		.amdhsa_user_sgpr_kernarg_preload_length 14
		.amdhsa_user_sgpr_kernarg_preload_offset 0
		.amdhsa_user_sgpr_private_segment_size 0
		.amdhsa_uses_dynamic_stack 0
		.amdhsa_enable_private_segment 0
		.amdhsa_system_sgpr_workgroup_id_x 1
		.amdhsa_system_sgpr_workgroup_id_y 1
		.amdhsa_system_sgpr_workgroup_id_z 0
		.amdhsa_system_sgpr_workgroup_info 0
		.amdhsa_system_vgpr_workitem_id 0
		.amdhsa_next_free_vgpr 100
		.amdhsa_next_free_sgpr 41
		.amdhsa_accum_offset 100
		.amdhsa_reserve_vcc 1
		.amdhsa_reserve_xnack_mask 1
		.amdhsa_float_round_mode_32 0
		.amdhsa_float_round_mode_16_64 0
		.amdhsa_float_denorm_mode_32 3
		.amdhsa_float_denorm_mode_16_64 3
		.amdhsa_dx10_clamp 1
		.amdhsa_ieee_mode 1
		.amdhsa_fp16_overflow 0
		.amdhsa_tg_split 0
		.amdhsa_exception_fp_ieee_invalid_op 0
		.amdhsa_exception_fp_denorm_src 0
		.amdhsa_exception_fp_ieee_div_zero 0
		.amdhsa_exception_fp_ieee_overflow 0
		.amdhsa_exception_fp_ieee_underflow 0
		.amdhsa_exception_fp_ieee_inexact 0
		.amdhsa_exception_int_div_zero 0
	.end_amdhsa_kernel
	.text
.Lfunc_end0:
	.size	kernel_paged_attention_2d, .Lfunc_end0-kernel_paged_attention_2d
	.cfi_endproc
                                        ; -- End function
	.set kernel_paged_attention_2d.num_vgpr, 100
	.set kernel_paged_attention_2d.num_agpr, 0
	.set kernel_paged_attention_2d.numbered_sgpr, 41
	.set kernel_paged_attention_2d.num_named_barrier, 0
	.set kernel_paged_attention_2d.private_seg_size, 0
	.set kernel_paged_attention_2d.uses_vcc, 1
	.set kernel_paged_attention_2d.uses_flat_scratch, 0
	.set kernel_paged_attention_2d.has_dyn_sized_stack, 0
	.set kernel_paged_attention_2d.has_recursion, 0
	.set kernel_paged_attention_2d.has_indirect_call, 0
	.section	.AMDGPU.csdata,"",@progbits
; Kernel info:
; codeLenInByte = 3980
; TotalNumSgprs: 47
; NumVgprs: 100
; NumAgprs: 0
; TotalNumVgprs: 100
; ScratchSize: 0
; MemoryBound: 0
; FloatMode: 240
; IeeeMode: 1
; LDSByteSize: 0 bytes/workgroup (compile time only)
; SGPRBlocks: 5
; VGPRBlocks: 12
; NumSGPRsForWavesPerEU: 47
; NumVGPRsForWavesPerEU: 100
; AccumOffset: 100
; Occupancy: 4
; WaveLimiterHint : 0
; COMPUTE_PGM_RSRC2:SCRATCH_EN: 0
; COMPUTE_PGM_RSRC2:USER_SGPR: 16
; COMPUTE_PGM_RSRC2:TRAP_HANDLER: 0
; COMPUTE_PGM_RSRC2:TGID_X_EN: 1
; COMPUTE_PGM_RSRC2:TGID_Y_EN: 1
; COMPUTE_PGM_RSRC2:TGID_Z_EN: 0
; COMPUTE_PGM_RSRC2:TIDIG_COMP_CNT: 0
; COMPUTE_PGM_RSRC3_GFX90A:ACCUM_OFFSET: 24
; COMPUTE_PGM_RSRC3_GFX90A:TG_SPLIT: 0
	.text
	.p2alignl 6, 3212836864
	.fill 256, 4, 3212836864
	.section	.AMDGPU.gpr_maximums,"",@progbits
	.set amdgpu.max_num_vgpr, 0
	.set amdgpu.max_num_agpr, 0
	.set amdgpu.max_num_sgpr, 0
	.set amdgpu.max_num_named_barrier, 0
	.text
	.section	.debug_abbrev,"",@progbits
	.byte	1                               ; Abbreviation Code
	.byte	17                              ; DW_TAG_compile_unit
	.byte	1                               ; DW_CHILDREN_yes
	.byte	37                              ; DW_AT_producer
	.byte	14                              ; DW_FORM_strp
	.byte	19                              ; DW_AT_language
	.byte	5                               ; DW_FORM_data2
	.byte	3                               ; DW_AT_name
	.byte	14                              ; DW_FORM_strp
	.byte	16                              ; DW_AT_stmt_list
	.byte	23                              ; DW_FORM_sec_offset
	.byte	27                              ; DW_AT_comp_dir
	.byte	14                              ; DW_FORM_strp
	.byte	17                              ; DW_AT_low_pc
	.byte	1                               ; DW_FORM_addr
	.byte	18                              ; DW_AT_high_pc
	.byte	6                               ; DW_FORM_data4
	.byte	0                               ; EOM(1)
	.byte	0                               ; EOM(2)
	.byte	2                               ; Abbreviation Code
	.byte	46                              ; DW_TAG_subprogram
	.byte	0                               ; DW_CHILDREN_no
	.byte	3                               ; DW_AT_name
	.byte	14                              ; DW_FORM_strp
	.byte	32                              ; DW_AT_inline
	.byte	11                              ; DW_FORM_data1
	.byte	0                               ; EOM(1)
	.byte	0                               ; EOM(2)
	.byte	3                               ; Abbreviation Code
	.byte	46                              ; DW_TAG_subprogram
	.byte	1                               ; DW_CHILDREN_yes
	.byte	17                              ; DW_AT_low_pc
	.byte	1                               ; DW_FORM_addr
	.byte	18                              ; DW_AT_high_pc
	.byte	6                               ; DW_FORM_data4
	.byte	49                              ; DW_AT_abstract_origin
	.byte	19                              ; DW_FORM_ref4
	.byte	0                               ; EOM(1)
	.byte	0                               ; EOM(2)
	.byte	4                               ; Abbreviation Code
	.byte	29                              ; DW_TAG_inlined_subroutine
	.byte	0                               ; DW_CHILDREN_no
	.byte	49                              ; DW_AT_abstract_origin
	.byte	19                              ; DW_FORM_ref4
	.byte	85                              ; DW_AT_ranges
	.byte	23                              ; DW_FORM_sec_offset
	.byte	88                              ; DW_AT_call_file
	.byte	11                              ; DW_FORM_data1
	.byte	89                              ; DW_AT_call_line
	.byte	11                              ; DW_FORM_data1
	.byte	87                              ; DW_AT_call_column
	.byte	11                              ; DW_FORM_data1
	.byte	0                               ; EOM(1)
	.byte	0                               ; EOM(2)
	.byte	5                               ; Abbreviation Code
	.byte	29                              ; DW_TAG_inlined_subroutine
	.byte	1                               ; DW_CHILDREN_yes
	.byte	49                              ; DW_AT_abstract_origin
	.byte	19                              ; DW_FORM_ref4
	.byte	17                              ; DW_AT_low_pc
	.byte	1                               ; DW_FORM_addr
	.byte	18                              ; DW_AT_high_pc
	.byte	6                               ; DW_FORM_data4
	.byte	88                              ; DW_AT_call_file
	.byte	11                              ; DW_FORM_data1
	.byte	89                              ; DW_AT_call_line
	.byte	11                              ; DW_FORM_data1
	.byte	87                              ; DW_AT_call_column
	.byte	11                              ; DW_FORM_data1
	.byte	0                               ; EOM(1)
	.byte	0                               ; EOM(2)
	.byte	6                               ; Abbreviation Code
	.byte	29                              ; DW_TAG_inlined_subroutine
	.byte	1                               ; DW_CHILDREN_yes
	.byte	49                              ; DW_AT_abstract_origin
	.byte	19                              ; DW_FORM_ref4
	.byte	85                              ; DW_AT_ranges
	.byte	23                              ; DW_FORM_sec_offset
	.byte	88                              ; DW_AT_call_file
	.byte	11                              ; DW_FORM_data1
	.byte	89                              ; DW_AT_call_line
	.byte	11                              ; DW_FORM_data1
	.byte	87                              ; DW_AT_call_column
	.byte	11                              ; DW_FORM_data1
	.byte	0                               ; EOM(1)
	.byte	0                               ; EOM(2)
	.byte	7                               ; Abbreviation Code
	.byte	29                              ; DW_TAG_inlined_subroutine
	.byte	0                               ; DW_CHILDREN_no
	.byte	49                              ; DW_AT_abstract_origin
	.byte	19                              ; DW_FORM_ref4
	.byte	85                              ; DW_AT_ranges
	.byte	23                              ; DW_FORM_sec_offset
	.byte	88                              ; DW_AT_call_file
	.byte	11                              ; DW_FORM_data1
	.byte	89                              ; DW_AT_call_line
	.byte	5                               ; DW_FORM_data2
	.byte	87                              ; DW_AT_call_column
	.byte	11                              ; DW_FORM_data1
	.byte	0                               ; EOM(1)
	.byte	0                               ; EOM(2)
	;; [unrolled: 1-line block ×3, first 2 shown]
	.section	.debug_info,"",@progbits
.Lcu_begin0:
	.long	.Ldebug_info_end0-.Ldebug_info_start0 ; Length of Unit
.Ldebug_info_start0:
	.short	4                               ; DWARF version number
	.long	.debug_abbrev                   ; Offset Into Abbrev. Section
	.byte	8                               ; Address Size (in bytes)
	.byte	1                               ; Abbrev [1] 0xb:0x7f DW_TAG_compile_unit
	.long	.Linfo_string0                  ; DW_AT_producer
	.short	2                               ; DW_AT_language
	.long	.Linfo_string1                  ; DW_AT_name
	.long	.Lline_table_start0             ; DW_AT_stmt_list
	.long	.Linfo_string2                  ; DW_AT_comp_dir
	.quad	.Lfunc_begin0                   ; DW_AT_low_pc
	.long	.Lfunc_end0-.Lfunc_begin0       ; DW_AT_high_pc
	.byte	2                               ; Abbrev [2] 0x2a:0x6 DW_TAG_subprogram
	.long	.Linfo_string3                  ; DW_AT_name
	.byte	1                               ; DW_AT_inline
	.byte	3                               ; Abbrev [3] 0x30:0x59 DW_TAG_subprogram
	.quad	.Lfunc_begin0                   ; DW_AT_low_pc
	.long	.Lfunc_end0-.Lfunc_begin0       ; DW_AT_high_pc
	.long	42                              ; DW_AT_abstract_origin
	.byte	4                               ; Abbrev [4] 0x41:0xc DW_TAG_inlined_subroutine
	.long	42                              ; DW_AT_abstract_origin
	.long	.Ldebug_ranges0                 ; DW_AT_ranges
	.byte	1                               ; DW_AT_call_file
	.byte	123                             ; DW_AT_call_line
	.byte	34                              ; DW_AT_call_column
	.byte	5                               ; Abbrev [5] 0x4d:0x21 DW_TAG_inlined_subroutine
	.long	42                              ; DW_AT_abstract_origin
	.quad	.Ltmp10                         ; DW_AT_low_pc
	.long	.Ltmp14-.Ltmp10                 ; DW_AT_high_pc
	.byte	1                               ; DW_AT_call_file
	.byte	201                             ; DW_AT_call_line
	.byte	35                              ; DW_AT_call_column
	.byte	4                               ; Abbrev [4] 0x61:0xc DW_TAG_inlined_subroutine
	.long	42                              ; DW_AT_abstract_origin
	.long	.Ldebug_ranges1                 ; DW_AT_ranges
	.byte	2                               ; DW_AT_call_file
	.byte	191                             ; DW_AT_call_line
	.byte	40                              ; DW_AT_call_column
	.byte	0                               ; End Of Children Mark
	.byte	6                               ; Abbrev [6] 0x6e:0x1a DW_TAG_inlined_subroutine
	.long	42                              ; DW_AT_abstract_origin
	.long	.Ldebug_ranges2                 ; DW_AT_ranges
	.byte	1                               ; DW_AT_call_file
	.byte	208                             ; DW_AT_call_line
	.byte	21                              ; DW_AT_call_column
	.byte	7                               ; Abbrev [7] 0x7a:0xd DW_TAG_inlined_subroutine
	.long	42                              ; DW_AT_abstract_origin
	.long	.Ldebug_ranges3                 ; DW_AT_ranges
	.byte	2                               ; DW_AT_call_file
	.short	293                             ; DW_AT_call_line
	.byte	36                              ; DW_AT_call_column
	.byte	0                               ; End Of Children Mark
	.byte	0                               ; End Of Children Mark
	;; [unrolled: 1-line block ×3, first 2 shown]
.Ldebug_info_end0:
	.section	.debug_ranges,"",@progbits
.Ldebug_ranges0:
	.quad	.Ltmp2-.Lfunc_begin0
	.quad	.Ltmp3-.Lfunc_begin0
	;; [unrolled: 1-line block ×8, first 2 shown]
	.quad	0
	.quad	0
.Ldebug_ranges1:
	.quad	.Ltmp10-.Lfunc_begin0
	.quad	.Ltmp11-.Lfunc_begin0
	;; [unrolled: 1-line block ×4, first 2 shown]
	.quad	0
	.quad	0
.Ldebug_ranges2:
	.quad	.Ltmp15-.Lfunc_begin0
	.quad	.Ltmp16-.Lfunc_begin0
	.quad	.Ltmp17-.Lfunc_begin0
	.quad	.Ltmp18-.Lfunc_begin0
	.quad	.Ltmp19-.Lfunc_begin0
	.quad	.Ltmp20-.Lfunc_begin0
	.quad	.Ltmp21-.Lfunc_begin0
	.quad	.Ltmp23-.Lfunc_begin0
	.quad	.Ltmp24-.Lfunc_begin0
	.quad	.Ltmp25-.Lfunc_begin0
	.quad	.Ltmp26-.Lfunc_begin0
	.quad	.Ltmp27-.Lfunc_begin0
	.quad	0
	.quad	0
.Ldebug_ranges3:
	.quad	.Ltmp15-.Lfunc_begin0
	.quad	.Ltmp16-.Lfunc_begin0
	.quad	.Ltmp17-.Lfunc_begin0
	.quad	.Ltmp18-.Lfunc_begin0
	.quad	.Ltmp19-.Lfunc_begin0
	.quad	.Ltmp20-.Lfunc_begin0
	.quad	.Ltmp22-.Lfunc_begin0
	.quad	.Ltmp23-.Lfunc_begin0
	.quad	.Ltmp26-.Lfunc_begin0
	.quad	.Ltmp27-.Lfunc_begin0
	.quad	0
	.quad	0
	.section	.debug_str,"MS",@progbits,1
.Linfo_string0:
	.asciz	"triton"                        ; string offset=0
.Linfo_string1:
	.asciz	"chunked_prefill_paged_decode_aot.py" ; string offset=7
.Linfo_string2:
	.asciz	"/root/src/amdgpu-assembly/repos/vllm-project__vllm/triton_aot_kernels" ; string offset=43
.Linfo_string3:
	.asciz	"kernel_paged_attention_2d"     ; string offset=113
	.section	".note.GNU-stack","",@progbits
	.amdgpu_metadata
---
amdhsa.kernels:
  - .agpr_count:     0
    .args:
      - .address_space:  global
        .offset:         0
        .size:           8
        .value_kind:     global_buffer
      - .address_space:  global
        .offset:         8
        .size:           8
        .value_kind:     global_buffer
      - .address_space:  global
        .offset:         16
        .size:           8
        .value_kind:     global_buffer
      - .address_space:  global
        .offset:         24
        .size:           8
        .value_kind:     global_buffer
      - .address_space:  global
        .offset:         32
        .size:           8
        .value_kind:     global_buffer
      - .address_space:  global
        .offset:         40
        .size:           8
        .value_kind:     global_buffer
      - .address_space:  global
        .offset:         48
        .size:           8
        .value_kind:     global_buffer
      - .address_space:  global
        .offset:         56
        .size:           8
        .value_kind:     global_buffer
      - .offset:         64
        .size:           4
        .value_kind:     by_value
      - .offset:         68
        .size:           4
        .value_kind:     by_value
      - .offset:         72
        .size:           4
        .value_kind:     by_value
      - .offset:         76
        .size:           4
        .value_kind:     by_value
      - .offset:         80
        .size:           4
        .value_kind:     by_value
      - .offset:         84
        .size:           4
        .value_kind:     by_value
      - .offset:         88
        .size:           4
        .value_kind:     by_value
      - .offset:         92
        .size:           4
        .value_kind:     by_value
      - .offset:         96
        .size:           4
        .value_kind:     by_value
      - .offset:         100
        .size:           4
        .value_kind:     by_value
      - .offset:         104
        .size:           4
        .value_kind:     by_value
      - .offset:         108
        .size:           4
        .value_kind:     by_value
      - .offset:         112
        .size:           4
        .value_kind:     by_value
      - .offset:         116
        .size:           4
        .value_kind:     by_value
      - .offset:         120
        .size:           4
        .value_kind:     by_value
      - .offset:         124
        .size:           4
        .value_kind:     by_value
      - .offset:         128
        .size:           4
        .value_kind:     by_value
      - .offset:         132
        .size:           4
        .value_kind:     by_value
      - .address_space:  global
        .offset:         136
        .size:           8
        .value_kind:     global_buffer
      - .address_space:  global
        .offset:         144
        .size:           8
        .value_kind:     global_buffer
      - .address_space:  global
        .offset:         152
        .size:           8
        .value_kind:     global_buffer
    .group_segment_fixed_size: 0
    .kernarg_segment_align: 8
    .kernarg_segment_size: 160
    .max_flat_workgroup_size: 256
    .name:           kernel_paged_attention_2d
    .private_segment_fixed_size: 0
    .sgpr_count:     47
    .sgpr_spill_count: 0
    .symbol:         kernel_paged_attention_2d.kd
    .uniform_work_group_size: 1
    .uses_dynamic_stack: false
    .vgpr_count:     100
    .vgpr_spill_count: 0
    .wavefront_size: 64
amdhsa.target:   amdgcn-amd-amdhsa--gfx950
amdhsa.version:
  - 1
  - 2
...

	.end_amdgpu_metadata
	.section	.debug_line,"",@progbits
.Lline_table_start0:
